;; amdgpu-corpus repo=ROCm/rocFFT kind=compiled arch=gfx950 opt=O3
	.text
	.amdgcn_target "amdgcn-amd-amdhsa--gfx950"
	.amdhsa_code_object_version 6
	.protected	fft_rtc_fwd_len1458_factors_6_3_3_3_3_3_wgs_243_tpt_243_halfLds_sp_ip_CI_unitstride_sbrr_R2C_dirReg ; -- Begin function fft_rtc_fwd_len1458_factors_6_3_3_3_3_3_wgs_243_tpt_243_halfLds_sp_ip_CI_unitstride_sbrr_R2C_dirReg
	.globl	fft_rtc_fwd_len1458_factors_6_3_3_3_3_3_wgs_243_tpt_243_halfLds_sp_ip_CI_unitstride_sbrr_R2C_dirReg
	.p2align	8
	.type	fft_rtc_fwd_len1458_factors_6_3_3_3_3_3_wgs_243_tpt_243_halfLds_sp_ip_CI_unitstride_sbrr_R2C_dirReg,@function
fft_rtc_fwd_len1458_factors_6_3_3_3_3_3_wgs_243_tpt_243_halfLds_sp_ip_CI_unitstride_sbrr_R2C_dirReg: ; @fft_rtc_fwd_len1458_factors_6_3_3_3_3_3_wgs_243_tpt_243_halfLds_sp_ip_CI_unitstride_sbrr_R2C_dirReg
; %bb.0:
	s_load_dwordx2 s[8:9], s[0:1], 0x50
	s_load_dwordx4 s[4:7], s[0:1], 0x0
	s_load_dwordx2 s[10:11], s[0:1], 0x18
	v_mul_u32_u24_e32 v1, 0x10e, v0
	v_add_u32_sdwa v6, s2, v1 dst_sel:DWORD dst_unused:UNUSED_PAD src0_sel:DWORD src1_sel:WORD_1
	v_mov_b32_e32 v4, 0
	s_waitcnt lgkmcnt(0)
	v_cmp_lt_u64_e64 s[2:3], s[6:7], 2
	v_mov_b32_e32 v7, v4
	s_and_b64 vcc, exec, s[2:3]
	v_mov_b64_e32 v[2:3], 0
	s_cbranch_vccnz .LBB0_8
; %bb.1:
	s_load_dwordx2 s[2:3], s[0:1], 0x10
	s_add_u32 s12, s10, 8
	s_addc_u32 s13, s11, 0
	s_mov_b64 s[14:15], 1
	v_mov_b64_e32 v[2:3], 0
	s_waitcnt lgkmcnt(0)
	s_add_u32 s16, s2, 8
	s_addc_u32 s17, s3, 0
.LBB0_2:                                ; =>This Inner Loop Header: Depth=1
	s_load_dwordx2 s[18:19], s[16:17], 0x0
                                        ; implicit-def: $vgpr8_vgpr9
	s_waitcnt lgkmcnt(0)
	v_or_b32_e32 v5, s19, v7
	v_cmp_ne_u64_e32 vcc, 0, v[4:5]
	s_and_saveexec_b64 s[2:3], vcc
	s_xor_b64 s[20:21], exec, s[2:3]
	s_cbranch_execz .LBB0_4
; %bb.3:                                ;   in Loop: Header=BB0_2 Depth=1
	v_cvt_f32_u32_e32 v1, s18
	v_cvt_f32_u32_e32 v5, s19
	s_sub_u32 s2, 0, s18
	s_subb_u32 s3, 0, s19
	v_fmac_f32_e32 v1, 0x4f800000, v5
	v_rcp_f32_e32 v1, v1
	s_nop 0
	v_mul_f32_e32 v1, 0x5f7ffffc, v1
	v_mul_f32_e32 v5, 0x2f800000, v1
	v_trunc_f32_e32 v5, v5
	v_fmac_f32_e32 v1, 0xcf800000, v5
	v_cvt_u32_f32_e32 v5, v5
	v_cvt_u32_f32_e32 v1, v1
	v_mul_lo_u32 v8, s2, v5
	v_mul_hi_u32 v10, s2, v1
	v_mul_lo_u32 v9, s3, v1
	v_add_u32_e32 v10, v10, v8
	v_mul_lo_u32 v12, s2, v1
	v_add_u32_e32 v13, v10, v9
	v_mul_hi_u32 v8, v1, v12
	v_mul_hi_u32 v11, v1, v13
	v_mul_lo_u32 v10, v1, v13
	v_mov_b32_e32 v9, v4
	v_lshl_add_u64 v[8:9], v[8:9], 0, v[10:11]
	v_mul_hi_u32 v11, v5, v12
	v_mul_lo_u32 v12, v5, v12
	v_add_co_u32_e32 v8, vcc, v8, v12
	v_mul_hi_u32 v10, v5, v13
	s_nop 0
	v_addc_co_u32_e32 v8, vcc, v9, v11, vcc
	v_mov_b32_e32 v9, v4
	s_nop 0
	v_addc_co_u32_e32 v11, vcc, 0, v10, vcc
	v_mul_lo_u32 v10, v5, v13
	v_lshl_add_u64 v[8:9], v[8:9], 0, v[10:11]
	v_add_co_u32_e32 v1, vcc, v1, v8
	v_mul_lo_u32 v10, s2, v1
	s_nop 0
	v_addc_co_u32_e32 v5, vcc, v5, v9, vcc
	v_mul_lo_u32 v8, s2, v5
	v_mul_hi_u32 v9, s2, v1
	v_add_u32_e32 v8, v9, v8
	v_mul_lo_u32 v9, s3, v1
	v_add_u32_e32 v12, v8, v9
	v_mul_hi_u32 v14, v5, v10
	v_mul_lo_u32 v15, v5, v10
	v_mul_hi_u32 v9, v1, v12
	v_mul_lo_u32 v8, v1, v12
	v_mul_hi_u32 v10, v1, v10
	v_mov_b32_e32 v11, v4
	v_lshl_add_u64 v[8:9], v[10:11], 0, v[8:9]
	v_add_co_u32_e32 v8, vcc, v8, v15
	v_mul_hi_u32 v13, v5, v12
	s_nop 0
	v_addc_co_u32_e32 v8, vcc, v9, v14, vcc
	v_mul_lo_u32 v10, v5, v12
	s_nop 0
	v_addc_co_u32_e32 v11, vcc, 0, v13, vcc
	v_mov_b32_e32 v9, v4
	v_lshl_add_u64 v[8:9], v[8:9], 0, v[10:11]
	v_add_co_u32_e32 v1, vcc, v1, v8
	v_mul_hi_u32 v10, v6, v1
	s_nop 0
	v_addc_co_u32_e32 v5, vcc, v5, v9, vcc
	v_mad_u64_u32 v[8:9], s[2:3], v6, v5, 0
	v_mov_b32_e32 v11, v4
	v_lshl_add_u64 v[8:9], v[10:11], 0, v[8:9]
	v_mad_u64_u32 v[12:13], s[2:3], v7, v1, 0
	v_add_co_u32_e32 v1, vcc, v8, v12
	v_mad_u64_u32 v[10:11], s[2:3], v7, v5, 0
	s_nop 0
	v_addc_co_u32_e32 v8, vcc, v9, v13, vcc
	v_mov_b32_e32 v9, v4
	s_nop 0
	v_addc_co_u32_e32 v11, vcc, 0, v11, vcc
	v_lshl_add_u64 v[8:9], v[8:9], 0, v[10:11]
	v_mul_lo_u32 v1, s19, v8
	v_mul_lo_u32 v5, s18, v9
	v_mad_u64_u32 v[10:11], s[2:3], s18, v8, 0
	v_add3_u32 v1, v11, v5, v1
	v_sub_u32_e32 v5, v7, v1
	v_mov_b32_e32 v11, s19
	v_sub_co_u32_e32 v14, vcc, v6, v10
	v_lshl_add_u64 v[12:13], v[8:9], 0, 1
	s_nop 0
	v_subb_co_u32_e64 v5, s[2:3], v5, v11, vcc
	v_subrev_co_u32_e64 v10, s[2:3], s18, v14
	v_subb_co_u32_e32 v1, vcc, v7, v1, vcc
	s_nop 0
	v_subbrev_co_u32_e64 v5, s[2:3], 0, v5, s[2:3]
	v_cmp_le_u32_e64 s[2:3], s19, v5
	v_cmp_le_u32_e32 vcc, s19, v1
	s_nop 0
	v_cndmask_b32_e64 v11, 0, -1, s[2:3]
	v_cmp_le_u32_e64 s[2:3], s18, v10
	s_nop 1
	v_cndmask_b32_e64 v10, 0, -1, s[2:3]
	v_cmp_eq_u32_e64 s[2:3], s19, v5
	s_nop 1
	v_cndmask_b32_e64 v5, v11, v10, s[2:3]
	v_lshl_add_u64 v[10:11], v[8:9], 0, 2
	v_cmp_ne_u32_e64 s[2:3], 0, v5
	s_nop 1
	v_cndmask_b32_e64 v5, v13, v11, s[2:3]
	v_cndmask_b32_e64 v11, 0, -1, vcc
	v_cmp_le_u32_e32 vcc, s18, v14
	s_nop 1
	v_cndmask_b32_e64 v13, 0, -1, vcc
	v_cmp_eq_u32_e32 vcc, s19, v1
	s_nop 1
	v_cndmask_b32_e32 v1, v11, v13, vcc
	v_cmp_ne_u32_e32 vcc, 0, v1
	v_cndmask_b32_e64 v1, v12, v10, s[2:3]
	s_nop 0
	v_cndmask_b32_e32 v9, v9, v5, vcc
	v_cndmask_b32_e32 v8, v8, v1, vcc
.LBB0_4:                                ;   in Loop: Header=BB0_2 Depth=1
	s_andn2_saveexec_b64 s[2:3], s[20:21]
	s_cbranch_execz .LBB0_6
; %bb.5:                                ;   in Loop: Header=BB0_2 Depth=1
	v_cvt_f32_u32_e32 v1, s18
	s_sub_i32 s20, 0, s18
	v_rcp_iflag_f32_e32 v1, v1
	s_nop 0
	v_mul_f32_e32 v1, 0x4f7ffffe, v1
	v_cvt_u32_f32_e32 v1, v1
	v_mul_lo_u32 v5, s20, v1
	v_mul_hi_u32 v5, v1, v5
	v_add_u32_e32 v1, v1, v5
	v_mul_hi_u32 v1, v6, v1
	v_mul_lo_u32 v5, v1, s18
	v_sub_u32_e32 v5, v6, v5
	v_add_u32_e32 v8, 1, v1
	v_subrev_u32_e32 v9, s18, v5
	v_cmp_le_u32_e32 vcc, s18, v5
	s_nop 1
	v_cndmask_b32_e32 v5, v5, v9, vcc
	v_cndmask_b32_e32 v1, v1, v8, vcc
	v_add_u32_e32 v8, 1, v1
	v_cmp_le_u32_e32 vcc, s18, v5
	v_mov_b32_e32 v9, v4
	s_nop 0
	v_cndmask_b32_e32 v8, v1, v8, vcc
.LBB0_6:                                ;   in Loop: Header=BB0_2 Depth=1
	s_or_b64 exec, exec, s[2:3]
	v_mad_u64_u32 v[10:11], s[2:3], v8, s18, 0
	s_load_dwordx2 s[2:3], s[12:13], 0x0
	v_mul_lo_u32 v1, v9, s18
	v_mul_lo_u32 v5, v8, s19
	v_add3_u32 v1, v11, v5, v1
	v_sub_co_u32_e32 v5, vcc, v6, v10
	s_add_u32 s14, s14, 1
	s_nop 0
	v_subb_co_u32_e32 v1, vcc, v7, v1, vcc
	s_addc_u32 s15, s15, 0
	s_waitcnt lgkmcnt(0)
	v_mul_lo_u32 v1, s2, v1
	v_mul_lo_u32 v6, s3, v5
	v_mad_u64_u32 v[2:3], s[2:3], s2, v5, v[2:3]
	s_add_u32 s12, s12, 8
	v_add3_u32 v3, v6, v3, v1
	s_addc_u32 s13, s13, 0
	v_mov_b64_e32 v[6:7], s[6:7]
	s_add_u32 s16, s16, 8
	v_cmp_ge_u64_e32 vcc, s[14:15], v[6:7]
	s_addc_u32 s17, s17, 0
	s_cbranch_vccnz .LBB0_9
; %bb.7:                                ;   in Loop: Header=BB0_2 Depth=1
	v_mov_b64_e32 v[6:7], v[8:9]
	s_branch .LBB0_2
.LBB0_8:
	v_mov_b64_e32 v[8:9], v[6:7]
.LBB0_9:
	s_lshl_b64 s[2:3], s[6:7], 3
	s_add_u32 s2, s10, s2
	s_addc_u32 s3, s11, s3
	s_load_dwordx2 s[6:7], s[2:3], 0x0
	s_load_dwordx2 s[10:11], s[0:1], 0x20
	s_mov_b32 s2, 0x10db20b
	s_waitcnt lgkmcnt(0)
	v_mul_lo_u32 v1, s6, v9
	v_mul_lo_u32 v4, s7, v8
	v_mad_u64_u32 v[2:3], s[0:1], s6, v8, v[2:3]
	v_add3_u32 v3, v4, v3, v1
	v_mul_hi_u32 v1, v0, s2
	v_mul_u32_u24_e32 v1, 0xf3, v1
	v_cmp_gt_u64_e64 s[0:1], s[10:11], v[8:9]
	v_cmp_le_u64_e32 vcc, s[10:11], v[8:9]
	v_sub_u32_e32 v0, v0, v1
                                        ; implicit-def: $vgpr4
	s_and_saveexec_b64 s[2:3], vcc
	s_xor_b64 s[2:3], exec, s[2:3]
; %bb.10:
	v_add_u32_e32 v4, 0xf3, v0
; %bb.11:
	s_or_saveexec_b64 s[2:3], s[2:3]
	v_lshl_add_u64 v[2:3], v[2:3], 3, s[8:9]
	s_xor_b64 exec, exec, s[2:3]
	s_cbranch_execz .LBB0_13
; %bb.12:
	v_mov_b32_e32 v1, 0
	v_lshl_add_u64 v[4:5], v[0:1], 3, v[2:3]
	v_add_co_u32_e32 v6, vcc, 0x1000, v4
	v_lshl_add_u32 v1, v0, 3, 0
	s_nop 0
	v_addc_co_u32_e32 v7, vcc, 0, v5, vcc
	global_load_dwordx2 v[8:9], v[4:5], off
	global_load_dwordx2 v[10:11], v[4:5], off offset:1944
	global_load_dwordx2 v[12:13], v[4:5], off offset:3888
	;; [unrolled: 1-line block ×3, first 2 shown]
	v_add_co_u32_e32 v4, vcc, 0x2000, v4
	s_nop 1
	v_addc_co_u32_e32 v5, vcc, 0, v5, vcc
	global_load_dwordx2 v[16:17], v[6:7], off offset:3680
	global_load_dwordx2 v[18:19], v[4:5], off offset:1528
	v_add_u32_e32 v4, 0xf3, v0
	v_add_u32_e32 v5, 0xf00, v1
	s_waitcnt vmcnt(4)
	ds_write2_b64 v1, v[8:9], v[10:11] offset1:243
	s_waitcnt vmcnt(2)
	ds_write2_b64 v5, v[12:13], v[14:15] offset0:6 offset1:249
	v_add_u32_e32 v1, 0x1e00, v1
	s_waitcnt vmcnt(0)
	ds_write2_b64 v1, v[16:17], v[18:19] offset0:12 offset1:255
.LBB0_13:
	s_or_b64 exec, exec, s[2:3]
	v_lshlrev_b32_e32 v1, 3, v0
	v_add_u32_e32 v16, 0, v1
	v_add_u32_e32 v5, 0xf00, v16
	;; [unrolled: 1-line block ×3, first 2 shown]
	s_waitcnt lgkmcnt(0)
	s_barrier
	ds_read2_b64 v[18:21], v5 offset0:6 offset1:249
	ds_read2_b64 v[22:25], v8 offset0:12 offset1:255
	ds_read2_b64 v[10:13], v16 offset1:243
	s_mov_b32 s2, 0x3f5db3d7
	s_mov_b32 s6, 0.5
	s_mov_b32 s7, s2
	s_waitcnt lgkmcnt(1)
	v_pk_add_f32 v[28:29], v[18:19], v[22:23]
	s_waitcnt lgkmcnt(0)
	v_pk_add_f32 v[6:7], v[10:11], v[18:19]
	v_pk_fma_f32 v[10:11], v[28:29], 0.5, v[10:11] op_sel_hi:[1,0,1] neg_lo:[1,0,0] neg_hi:[1,0,0]
	v_pk_add_f32 v[28:29], v[20:21], v[24:25]
	v_pk_add_f32 v[14:15], v[12:13], v[20:21]
	v_pk_fma_f32 v[12:13], v[28:29], 0.5, v[12:13] op_sel_hi:[1,0,1] neg_lo:[1,0,0] neg_hi:[1,0,0]
	v_pk_add_f32 v[20:21], v[20:21], v[24:25] neg_lo:[0,1] neg_hi:[0,1]
	v_pk_add_f32 v[14:15], v[14:15], v[24:25]
	v_pk_add_f32 v[18:19], v[18:19], v[22:23] neg_lo:[0,1] neg_hi:[0,1]
	v_pk_fma_f32 v[24:25], v[20:21], s[2:3], v[12:13] op_sel:[0,0,1] op_sel_hi:[1,0,0]
	v_pk_fma_f32 v[12:13], v[20:21], s[2:3], v[12:13] op_sel:[0,0,1] op_sel_hi:[1,0,0] neg_lo:[1,0,0] neg_hi:[1,0,0]
	v_pk_mul_f32 v[18:19], v[18:19], s[2:3] op_sel_hi:[1,0]
	v_mov_b32_e32 v20, v24
	v_mov_b32_e32 v21, v13
	v_pk_add_f32 v[6:7], v[6:7], v[22:23]
	v_pk_add_f32 v[22:23], v[10:11], v[18:19] op_sel:[0,1] op_sel_hi:[1,0]
	v_pk_add_f32 v[10:11], v[10:11], v[18:19] op_sel:[0,1] op_sel_hi:[1,0] neg_lo:[0,1] neg_hi:[0,1]
	s_mov_b32 s3, 0xbf5db3d7
	v_pk_mul_f32 v[28:29], v[20:21], 0.5 op_sel_hi:[1,0]
	v_mov_b32_e32 v18, v22
	v_mov_b32_e32 v19, v11
	v_pk_fma_f32 v[20:21], v[20:21], s[2:3], v[28:29] op_sel:[0,0,1] op_sel_hi:[1,1,0] neg_lo:[0,0,1] neg_hi:[0,0,1]
	v_mov_b32_e32 v11, v23
	v_pk_mul_f32 v[22:23], v[24:25], s[6:7] op_sel:[1,0]
	s_mov_b32 s3, s6
	v_pk_fma_f32 v[24:25], v[12:13], s[2:3], v[22:23]
	v_pk_fma_f32 v[12:13], v[12:13], s[2:3], v[22:23] op_sel_hi:[0,1,1] neg_lo:[0,0,1] neg_hi:[0,0,1]
	v_mad_u32_u24 v9, v0, 40, v16
	v_pk_add_f32 v[26:27], v[6:7], v[14:15]
	v_mov_b32_e32 v25, v13
	v_pk_add_f32 v[22:23], v[10:11], v[20:21]
	v_pk_add_f32 v[6:7], v[6:7], v[14:15] neg_lo:[0,1] neg_hi:[0,1]
	s_barrier
	ds_write2_b64 v9, v[22:23], v[6:7] offset0:2 offset1:3
	v_pk_add_f32 v[6:7], v[18:19], v[24:25] neg_lo:[0,1] neg_hi:[0,1]
	v_pk_add_f32 v[10:11], v[10:11], v[20:21] neg_lo:[0,1] neg_hi:[0,1]
	s_movk_i32 s3, 0xab
	ds_write2_b64 v9, v[6:7], v[10:11] offset0:4 offset1:5
	v_mul_lo_u16_sdwa v6, v0, s3 dst_sel:DWORD dst_unused:UNUSED_PAD src0_sel:BYTE_0 src1_sel:DWORD
	s_mov_b32 s3, 0xaaab
	v_mul_u32_u24_sdwa v10, v4, s3 dst_sel:DWORD dst_unused:UNUSED_PAD src0_sel:WORD_0 src1_sel:DWORD
	v_lshrrev_b16_e32 v6, 10, v6
	v_lshrrev_b32_e32 v14, 18, v10
	v_pk_add_f32 v[12:13], v[18:19], v[24:25]
	v_mul_lo_u16_e32 v7, 6, v6
	v_mul_lo_u16_e32 v10, 6, v14
	ds_write2_b64 v9, v[26:27], v[12:13] offset1:1
	v_sub_u16_e32 v7, v0, v7
	v_mov_b32_e32 v9, 4
	v_sub_u16_e32 v15, v4, v10
	v_lshlrev_b32_e32 v10, 4, v15
	v_lshlrev_b32_sdwa v17, v9, v7 dst_sel:DWORD dst_unused:UNUSED_PAD src0_sel:DWORD src1_sel:BYTE_0
	s_waitcnt lgkmcnt(0)
	s_barrier
	global_load_dwordx4 v[10:13], v10, s[4:5]
	v_mov_b32_e32 v40, 3
	global_load_dwordx4 v[18:21], v17, s[4:5]
	ds_read2_b64 v[22:25], v5 offset0:6 offset1:249
	ds_read2_b64 v[26:29], v8 offset0:12 offset1:255
	v_mul_u32_u24_e32 v6, 0x90, v6
	v_mul_u32_u24_e32 v14, 0x90, v14
	v_lshlrev_b32_sdwa v7, v40, v7 dst_sel:DWORD dst_unused:UNUSED_PAD src0_sel:DWORD src1_sel:BYTE_0
	v_lshlrev_b32_e32 v15, 3, v15
	v_lshl_add_u32 v17, v4, 3, 0
	v_add3_u32 v41, 0, v6, v7
	v_add3_u32 v42, 0, v14, v15
	ds_read2_b32 v[6:7], v16 offset1:1
	ds_read_b64 v[14:15], v17
	s_waitcnt lgkmcnt(0)
	s_barrier
	s_waitcnt vmcnt(1)
	v_pk_mul_f32 v[30:31], v[10:11], v[24:25] op_sel:[0,1]
	v_pk_mul_f32 v[32:33], v[12:13], v[28:29] op_sel:[0,1]
	s_waitcnt vmcnt(0)
	v_pk_mul_f32 v[34:35], v[18:19], v[22:23] op_sel:[0,1]
	v_pk_mul_f32 v[36:37], v[20:21], v[26:27] op_sel:[0,1]
	v_pk_fma_f32 v[38:39], v[10:11], v[24:25], v[30:31] op_sel:[0,0,1] op_sel_hi:[1,1,0] neg_lo:[0,0,1] neg_hi:[0,0,1]
	v_pk_fma_f32 v[10:11], v[10:11], v[24:25], v[30:31] op_sel:[0,0,1] op_sel_hi:[1,0,0]
	v_pk_fma_f32 v[24:25], v[12:13], v[28:29], v[32:33] op_sel:[0,0,1] op_sel_hi:[1,1,0] neg_lo:[0,0,1] neg_hi:[0,0,1]
	v_pk_fma_f32 v[12:13], v[12:13], v[28:29], v[32:33] op_sel:[0,0,1] op_sel_hi:[1,0,0]
	;; [unrolled: 2-line block ×4, first 2 shown]
	v_mov_b32_e32 v29, v19
	v_mov_b32_e32 v23, v21
	v_pk_add_f32 v[18:19], v[28:29], v[22:23]
	v_mov_b32_e32 v25, v13
	v_pk_add_f32 v[12:13], v[28:29], v[6:7]
	v_pk_fma_f32 v[6:7], v[18:19], 0.5, v[6:7] op_sel_hi:[1,0,1] neg_lo:[1,0,0] neg_hi:[1,0,0]
	v_pk_add_f32 v[18:19], v[28:29], v[22:23] neg_lo:[0,1] neg_hi:[0,1]
	v_mov_b32_e32 v39, v11
	v_pk_mul_f32 v[18:19], v[18:19], s[2:3] op_sel_hi:[1,0]
	v_pk_add_f32 v[12:13], v[12:13], v[22:23]
	v_pk_add_f32 v[20:21], v[6:7], v[18:19] op_sel:[0,1] op_sel_hi:[1,0]
	v_pk_add_f32 v[6:7], v[6:7], v[18:19] op_sel:[0,1] op_sel_hi:[1,0] neg_lo:[0,1] neg_hi:[0,1]
	v_mov_b32_e32 v18, v20
	v_mov_b32_e32 v19, v7
	;; [unrolled: 1-line block ×3, first 2 shown]
	ds_write2_b64 v41, v[12:13], v[18:19] offset1:6
	ds_write_b64 v41, v[6:7] offset:96
	v_pk_add_f32 v[6:7], v[38:39], v[24:25]
	v_pk_add_f32 v[12:13], v[38:39], v[24:25] neg_lo:[0,1] neg_hi:[0,1]
	v_pk_fma_f32 v[6:7], v[6:7], 0.5, v[14:15] op_sel_hi:[1,0,1] neg_lo:[1,0,0] neg_hi:[1,0,0]
	v_pk_mul_f32 v[12:13], v[12:13], s[2:3] op_sel_hi:[1,0]
	v_pk_add_f32 v[10:11], v[14:15], v[38:39]
	v_pk_add_f32 v[14:15], v[6:7], v[12:13] op_sel:[0,1] op_sel_hi:[1,0]
	v_pk_add_f32 v[6:7], v[6:7], v[12:13] op_sel:[0,1] op_sel_hi:[1,0] neg_lo:[0,1] neg_hi:[0,1]
	v_pk_add_f32 v[10:11], v[10:11], v[24:25]
	v_mov_b32_e32 v13, v7
	v_mov_b32_e32 v7, v15
	;; [unrolled: 1-line block ×3, first 2 shown]
	ds_write_b64 v42, v[6:7] offset:96
	v_mov_b32_e32 v6, 57
	s_mov_b32 s3, 0xe38f
	ds_write2_b64 v42, v[10:11], v[12:13] offset1:6
	v_mul_lo_u16_sdwa v6, v0, v6 dst_sel:DWORD dst_unused:UNUSED_PAD src0_sel:BYTE_0 src1_sel:DWORD
	v_mul_u32_u24_sdwa v10, v4, s3 dst_sel:DWORD dst_unused:UNUSED_PAD src0_sel:WORD_0 src1_sel:DWORD
	v_lshrrev_b16_e32 v6, 10, v6
	v_lshrrev_b32_e32 v14, 20, v10
	v_mul_lo_u16_e32 v7, 18, v6
	v_mul_lo_u16_e32 v10, 18, v14
	v_sub_u16_e32 v7, v0, v7
	v_sub_u16_e32 v15, v4, v10
	v_lshlrev_b32_e32 v10, 4, v15
	v_lshlrev_b32_sdwa v18, v9, v7 dst_sel:DWORD dst_unused:UNUSED_PAD src0_sel:DWORD src1_sel:BYTE_0
	s_waitcnt lgkmcnt(0)
	s_barrier
	global_load_dwordx4 v[10:13], v10, s[4:5] offset:96
	v_mul_u32_u24_e32 v6, 0x1b0, v6
	global_load_dwordx4 v[18:21], v18, s[4:5] offset:96
	v_mul_u32_u24_e32 v14, 0x1b0, v14
	v_lshlrev_b32_sdwa v7, v40, v7 dst_sel:DWORD dst_unused:UNUSED_PAD src0_sel:DWORD src1_sel:BYTE_0
	v_lshlrev_b32_e32 v15, 3, v15
	v_add3_u32 v41, 0, v6, v7
	v_add3_u32 v42, 0, v14, v15
	ds_read2_b64 v[22:25], v5 offset0:6 offset1:249
	ds_read2_b64 v[26:29], v8 offset0:12 offset1:255
	ds_read_b64 v[6:7], v16
	ds_read_b64 v[14:15], v17
	s_waitcnt lgkmcnt(0)
	s_barrier
	s_waitcnt vmcnt(1)
	v_pk_mul_f32 v[30:31], v[10:11], v[24:25] op_sel:[0,1]
	v_pk_mul_f32 v[32:33], v[12:13], v[28:29] op_sel:[0,1]
	s_waitcnt vmcnt(0)
	v_pk_mul_f32 v[34:35], v[18:19], v[22:23] op_sel:[0,1]
	v_pk_mul_f32 v[36:37], v[20:21], v[26:27] op_sel:[0,1]
	v_pk_fma_f32 v[38:39], v[10:11], v[24:25], v[30:31] op_sel:[0,0,1] op_sel_hi:[1,1,0] neg_lo:[0,0,1] neg_hi:[0,0,1]
	v_pk_fma_f32 v[10:11], v[10:11], v[24:25], v[30:31] op_sel:[0,0,1] op_sel_hi:[1,0,0]
	v_pk_fma_f32 v[24:25], v[12:13], v[28:29], v[32:33] op_sel:[0,0,1] op_sel_hi:[1,1,0] neg_lo:[0,0,1] neg_hi:[0,0,1]
	v_pk_fma_f32 v[12:13], v[12:13], v[28:29], v[32:33] op_sel:[0,0,1] op_sel_hi:[1,0,0]
	v_pk_fma_f32 v[28:29], v[18:19], v[22:23], v[34:35] op_sel:[0,0,1] op_sel_hi:[1,1,0] neg_lo:[0,0,1] neg_hi:[0,0,1]
	v_pk_fma_f32 v[18:19], v[18:19], v[22:23], v[34:35] op_sel:[0,0,1] op_sel_hi:[1,0,0]
	v_pk_fma_f32 v[22:23], v[20:21], v[26:27], v[36:37] op_sel:[0,0,1] op_sel_hi:[1,1,0] neg_lo:[0,0,1] neg_hi:[0,0,1]
	v_pk_fma_f32 v[20:21], v[20:21], v[26:27], v[36:37] op_sel:[0,0,1] op_sel_hi:[1,0,0]
	v_mov_b32_e32 v29, v19
	v_mov_b32_e32 v23, v21
	v_pk_add_f32 v[18:19], v[28:29], v[22:23]
	v_pk_add_f32 v[20:21], v[28:29], v[22:23] neg_lo:[0,1] neg_hi:[0,1]
	v_mov_b32_e32 v25, v13
	v_pk_add_f32 v[12:13], v[28:29], v[6:7]
	v_pk_fma_f32 v[6:7], v[18:19], 0.5, v[6:7] op_sel_hi:[1,0,1] neg_lo:[1,0,0] neg_hi:[1,0,0]
	v_pk_mul_f32 v[18:19], v[20:21], s[2:3] op_sel_hi:[1,0]
	v_mov_b32_e32 v39, v11
	v_pk_add_f32 v[20:21], v[6:7], v[18:19] op_sel:[0,1] op_sel_hi:[1,0]
	v_pk_add_f32 v[6:7], v[6:7], v[18:19] op_sel:[0,1] op_sel_hi:[1,0] neg_lo:[0,1] neg_hi:[0,1]
	v_pk_add_f32 v[12:13], v[12:13], v[22:23]
	v_mov_b32_e32 v18, v20
	v_mov_b32_e32 v19, v7
	;; [unrolled: 1-line block ×3, first 2 shown]
	v_pk_add_f32 v[26:27], v[38:39], v[24:25]
	ds_write2_b64 v41, v[12:13], v[18:19] offset1:18
	ds_write_b64 v41, v[6:7] offset:288
	v_pk_add_f32 v[6:7], v[38:39], v[24:25] neg_lo:[0,1] neg_hi:[0,1]
	v_pk_add_f32 v[10:11], v[14:15], v[38:39]
	v_pk_fma_f32 v[14:15], v[26:27], 0.5, v[14:15] op_sel_hi:[1,0,1] neg_lo:[1,0,0] neg_hi:[1,0,0]
	v_pk_mul_f32 v[6:7], v[6:7], s[2:3] op_sel_hi:[1,0]
	v_pk_add_f32 v[10:11], v[10:11], v[24:25]
	v_pk_add_f32 v[12:13], v[14:15], v[6:7] op_sel:[0,1] op_sel_hi:[1,0]
	v_pk_add_f32 v[6:7], v[14:15], v[6:7] op_sel:[0,1] op_sel_hi:[1,0] neg_lo:[0,1] neg_hi:[0,1]
	v_mov_b32_e32 v14, v12
	v_mov_b32_e32 v15, v7
	;; [unrolled: 1-line block ×3, first 2 shown]
	ds_write2_b64 v42, v[10:11], v[14:15] offset1:18
	ds_write_b64 v42, v[6:7] offset:288
	v_mov_b32_e32 v6, 19
	v_lshrrev_b16_e32 v10, 1, v4
	v_mul_lo_u16_sdwa v6, v0, v6 dst_sel:DWORD dst_unused:UNUSED_PAD src0_sel:BYTE_0 src1_sel:DWORD
	v_mul_u32_u24_e32 v10, 0x97b5, v10
	v_lshrrev_b16_e32 v6, 10, v6
	v_lshrrev_b32_e32 v14, 20, v10
	v_mul_lo_u16_e32 v7, 54, v6
	v_mul_lo_u16_e32 v10, 54, v14
	v_sub_u16_e32 v7, v0, v7
	v_sub_u16_e32 v15, v4, v10
	v_lshlrev_b32_e32 v10, 4, v15
	v_lshlrev_b32_sdwa v9, v9, v7 dst_sel:DWORD dst_unused:UNUSED_PAD src0_sel:DWORD src1_sel:BYTE_0
	s_waitcnt lgkmcnt(0)
	s_barrier
	global_load_dwordx4 v[10:13], v10, s[4:5] offset:384
	v_mul_u32_u24_e32 v6, 0x510, v6
	global_load_dwordx4 v[18:21], v9, s[4:5] offset:384
	v_mul_u32_u24_e32 v14, 0x510, v14
	v_lshlrev_b32_sdwa v7, v40, v7 dst_sel:DWORD dst_unused:UNUSED_PAD src0_sel:DWORD src1_sel:BYTE_0
	v_lshlrev_b32_e32 v15, 3, v15
	v_add3_u32 v40, 0, v6, v7
	v_add3_u32 v41, 0, v14, v15
	ds_read2_b64 v[22:25], v5 offset0:6 offset1:249
	ds_read2_b64 v[26:29], v8 offset0:12 offset1:255
	ds_read_b64 v[6:7], v16
	ds_read_b64 v[14:15], v17
	s_movk_i32 s3, 0xa2
	v_cmp_gt_u32_e32 vcc, s3, v0
	s_waitcnt lgkmcnt(0)
	s_barrier
	v_add_u32_e32 v9, 0xffffff5e, v0
	v_cndmask_b32_e32 v9, v9, v0, vcc
	s_waitcnt vmcnt(1)
	v_pk_mul_f32 v[30:31], v[10:11], v[24:25] op_sel:[0,1]
	v_pk_mul_f32 v[32:33], v[12:13], v[28:29] op_sel:[0,1]
	s_waitcnt vmcnt(0)
	v_pk_mul_f32 v[34:35], v[18:19], v[22:23] op_sel:[0,1]
	v_pk_mul_f32 v[36:37], v[20:21], v[26:27] op_sel:[0,1]
	v_pk_fma_f32 v[38:39], v[10:11], v[24:25], v[30:31] op_sel:[0,0,1] op_sel_hi:[1,1,0] neg_lo:[0,0,1] neg_hi:[0,0,1]
	v_pk_fma_f32 v[10:11], v[10:11], v[24:25], v[30:31] op_sel:[0,0,1] op_sel_hi:[1,0,0]
	v_pk_fma_f32 v[24:25], v[12:13], v[28:29], v[32:33] op_sel:[0,0,1] op_sel_hi:[1,1,0] neg_lo:[0,0,1] neg_hi:[0,0,1]
	v_pk_fma_f32 v[12:13], v[12:13], v[28:29], v[32:33] op_sel:[0,0,1] op_sel_hi:[1,0,0]
	;; [unrolled: 2-line block ×4, first 2 shown]
	v_mov_b32_e32 v29, v19
	v_mov_b32_e32 v23, v21
	;; [unrolled: 1-line block ×4, first 2 shown]
	v_pk_add_f32 v[18:19], v[28:29], v[22:23]
	v_pk_add_f32 v[20:21], v[28:29], v[22:23] neg_lo:[0,1] neg_hi:[0,1]
	v_pk_add_f32 v[12:13], v[28:29], v[6:7]
	v_pk_add_f32 v[26:27], v[38:39], v[24:25]
	v_pk_add_f32 v[28:29], v[38:39], v[24:25] neg_lo:[0,1] neg_hi:[0,1]
	v_pk_fma_f32 v[6:7], v[18:19], 0.5, v[6:7] op_sel_hi:[1,0,1] neg_lo:[1,0,0] neg_hi:[1,0,0]
	v_pk_mul_f32 v[18:19], v[20:21], s[2:3] op_sel_hi:[1,0]
	v_pk_add_f32 v[10:11], v[14:15], v[38:39]
	v_pk_add_f32 v[12:13], v[12:13], v[22:23]
	v_pk_fma_f32 v[14:15], v[26:27], 0.5, v[14:15] op_sel_hi:[1,0,1] neg_lo:[1,0,0] neg_hi:[1,0,0]
	v_pk_mul_f32 v[20:21], v[28:29], s[2:3] op_sel_hi:[1,0]
	v_pk_add_f32 v[22:23], v[6:7], v[18:19] op_sel:[0,1] op_sel_hi:[1,0]
	v_pk_add_f32 v[6:7], v[6:7], v[18:19] op_sel:[0,1] op_sel_hi:[1,0] neg_lo:[0,1] neg_hi:[0,1]
	v_pk_add_f32 v[10:11], v[10:11], v[24:25]
	v_pk_add_f32 v[18:19], v[14:15], v[20:21] op_sel:[0,1] op_sel_hi:[1,0]
	v_pk_add_f32 v[14:15], v[14:15], v[20:21] op_sel:[0,1] op_sel_hi:[1,0] neg_lo:[0,1] neg_hi:[0,1]
	v_mov_b32_e32 v20, v22
	v_mov_b32_e32 v21, v7
	s_movk_i32 s3, 0x6523
	v_mov_b32_e32 v7, v23
	v_mov_b32_e32 v22, v18
	;; [unrolled: 1-line block ×4, first 2 shown]
	ds_write2_b64 v40, v[12:13], v[20:21] offset1:54
	ds_write_b64 v40, v[6:7] offset:864
	ds_write2_b64 v41, v[10:11], v[22:23] offset1:54
	ds_write_b64 v41, v[14:15] offset:864
	v_mul_u32_u24_sdwa v10, v4, s3 dst_sel:DWORD dst_unused:UNUSED_PAD src0_sel:WORD_0 src1_sel:DWORD
	v_lshrrev_b32_e32 v22, 22, v10
	v_mul_lo_u16_e32 v10, 0xa2, v22
	v_lshlrev_b32_e32 v6, 1, v9
	v_mov_b32_e32 v7, 0
	v_sub_u16_e32 v23, v4, v10
	v_lshlrev_b32_e32 v10, 4, v23
	v_lshl_add_u64 v[14:15], v[6:7], 3, s[4:5]
	s_waitcnt lgkmcnt(0)
	s_barrier
	global_load_dwordx4 v[10:13], v10, s[4:5] offset:1248
	s_movk_i32 s3, 0xa1
	global_load_dwordx4 v[18:21], v[14:15], off offset:1248
	v_mov_b32_e32 v6, 0xf30
	v_cmp_lt_u32_e32 vcc, s3, v0
	v_lshlrev_b32_e32 v9, 3, v9
	v_mul_u32_u24_e32 v22, 0xf30, v22
	v_cndmask_b32_e32 v6, 0, v6, vcc
	v_add3_u32 v9, 0, v6, v9
	v_lshlrev_b32_e32 v6, 1, v0
	v_lshl_add_u64 v[14:15], v[6:7], 3, s[4:5]
	v_lshlrev_b32_e32 v6, 1, v4
	v_lshlrev_b32_e32 v23, 3, v23
	v_lshl_add_u64 v[30:31], v[6:7], 3, s[4:5]
	v_add3_u32 v6, 0, v22, v23
	ds_read2_b64 v[22:25], v5 offset0:6 offset1:249
	ds_read2_b64 v[26:29], v8 offset0:12 offset1:255
	ds_read_b64 v[32:33], v16
	ds_read_b64 v[34:35], v17
	s_waitcnt lgkmcnt(0)
	s_barrier
	v_cmp_ne_u32_e32 vcc, 0, v0
	s_waitcnt vmcnt(1)
	v_pk_mul_f32 v[36:37], v[10:11], v[24:25] op_sel:[0,1]
	v_pk_mul_f32 v[38:39], v[12:13], v[28:29] op_sel:[0,1]
	s_waitcnt vmcnt(0)
	v_pk_mul_f32 v[40:41], v[18:19], v[22:23] op_sel:[0,1]
	v_pk_mul_f32 v[42:43], v[20:21], v[26:27] op_sel:[0,1]
	v_pk_fma_f32 v[44:45], v[10:11], v[24:25], v[36:37] op_sel:[0,0,1] op_sel_hi:[1,1,0] neg_lo:[0,0,1] neg_hi:[0,0,1]
	v_pk_fma_f32 v[10:11], v[10:11], v[24:25], v[36:37] op_sel:[0,0,1] op_sel_hi:[1,0,0]
	v_pk_fma_f32 v[24:25], v[12:13], v[28:29], v[38:39] op_sel:[0,0,1] op_sel_hi:[1,1,0] neg_lo:[0,0,1] neg_hi:[0,0,1]
	v_pk_fma_f32 v[12:13], v[12:13], v[28:29], v[38:39] op_sel:[0,0,1] op_sel_hi:[1,0,0]
	;; [unrolled: 2-line block ×4, first 2 shown]
	v_mov_b32_e32 v29, v19
	v_mov_b32_e32 v23, v21
	;; [unrolled: 1-line block ×4, first 2 shown]
	v_pk_add_f32 v[18:19], v[28:29], v[22:23]
	v_pk_add_f32 v[20:21], v[28:29], v[22:23] neg_lo:[0,1] neg_hi:[0,1]
	v_pk_add_f32 v[10:11], v[34:35], v[44:45]
	v_pk_add_f32 v[12:13], v[28:29], v[32:33]
	;; [unrolled: 1-line block ×3, first 2 shown]
	v_pk_add_f32 v[28:29], v[44:45], v[24:25] neg_lo:[0,1] neg_hi:[0,1]
	v_pk_fma_f32 v[18:19], v[18:19], 0.5, v[32:33] op_sel_hi:[1,0,1] neg_lo:[1,0,0] neg_hi:[1,0,0]
	v_pk_mul_f32 v[20:21], v[20:21], s[2:3] op_sel_hi:[1,0]
	v_pk_add_f32 v[10:11], v[10:11], v[24:25]
	v_pk_add_f32 v[12:13], v[12:13], v[22:23]
	v_pk_fma_f32 v[22:23], v[26:27], 0.5, v[34:35] op_sel_hi:[1,0,1] neg_lo:[1,0,0] neg_hi:[1,0,0]
	v_pk_mul_f32 v[24:25], v[28:29], s[2:3] op_sel_hi:[1,0]
	v_pk_add_f32 v[26:27], v[18:19], v[20:21] op_sel:[0,1] op_sel_hi:[1,0]
	v_pk_add_f32 v[18:19], v[18:19], v[20:21] op_sel:[0,1] op_sel_hi:[1,0] neg_lo:[0,1] neg_hi:[0,1]
	v_pk_add_f32 v[20:21], v[22:23], v[24:25] op_sel:[0,1] op_sel_hi:[1,0]
	v_pk_add_f32 v[22:23], v[22:23], v[24:25] op_sel:[0,1] op_sel_hi:[1,0] neg_lo:[0,1] neg_hi:[0,1]
	v_mov_b32_e32 v24, v26
	v_mov_b32_e32 v25, v19
	;; [unrolled: 1-line block ×6, first 2 shown]
	ds_write2_b64 v9, v[12:13], v[24:25] offset1:162
	ds_write_b64 v9, v[18:19] offset:2592
	ds_write2_b64 v6, v[10:11], v[26:27] offset1:162
	ds_write_b64 v6, v[22:23] offset:2592
	s_waitcnt lgkmcnt(0)
	s_barrier
	global_load_dwordx4 v[10:13], v[30:31], off offset:3840
	global_load_dwordx4 v[18:21], v[14:15], off offset:3840
	ds_read2_b64 v[22:25], v5 offset0:6 offset1:249
	ds_read2_b64 v[26:29], v8 offset0:12 offset1:255
	ds_read_b64 v[8:9], v16
	ds_read_b64 v[14:15], v17
	s_waitcnt lgkmcnt(0)
	s_barrier
	v_sub_u32_e32 v6, 0, v1
	s_waitcnt vmcnt(1)
	v_pk_mul_f32 v[30:31], v[10:11], v[24:25] op_sel:[0,1]
	v_pk_mul_f32 v[32:33], v[12:13], v[28:29] op_sel:[0,1]
	s_waitcnt vmcnt(0)
	v_pk_mul_f32 v[34:35], v[18:19], v[22:23] op_sel:[0,1]
	v_pk_mul_f32 v[36:37], v[20:21], v[26:27] op_sel:[0,1]
	v_pk_fma_f32 v[38:39], v[10:11], v[24:25], v[30:31] op_sel:[0,0,1] op_sel_hi:[1,1,0] neg_lo:[0,0,1] neg_hi:[0,0,1]
	v_pk_fma_f32 v[10:11], v[10:11], v[24:25], v[30:31] op_sel:[0,0,1] op_sel_hi:[1,0,0]
	v_pk_fma_f32 v[24:25], v[12:13], v[28:29], v[32:33] op_sel:[0,0,1] op_sel_hi:[1,1,0] neg_lo:[0,0,1] neg_hi:[0,0,1]
	v_pk_fma_f32 v[12:13], v[12:13], v[28:29], v[32:33] op_sel:[0,0,1] op_sel_hi:[1,0,0]
	;; [unrolled: 2-line block ×4, first 2 shown]
	v_mov_b32_e32 v39, v11
	v_mov_b32_e32 v25, v13
	;; [unrolled: 1-line block ×4, first 2 shown]
	v_pk_add_f32 v[12:13], v[28:29], v[8:9]
	v_pk_add_f32 v[18:19], v[28:29], v[22:23]
	v_pk_add_f32 v[20:21], v[28:29], v[22:23] neg_lo:[0,1] neg_hi:[0,1]
	v_pk_add_f32 v[26:27], v[38:39], v[24:25]
	v_pk_add_f32 v[28:29], v[38:39], v[24:25] neg_lo:[0,1] neg_hi:[0,1]
	v_pk_add_f32 v[10:11], v[14:15], v[38:39]
	v_pk_add_f32 v[12:13], v[12:13], v[22:23]
	v_pk_fma_f32 v[8:9], v[18:19], 0.5, v[8:9] op_sel_hi:[1,0,1] neg_lo:[1,0,0] neg_hi:[1,0,0]
	v_pk_mul_f32 v[18:19], v[20:21], s[2:3] op_sel_hi:[1,0]
	v_pk_fma_f32 v[14:15], v[26:27], 0.5, v[14:15] op_sel_hi:[1,0,1] neg_lo:[1,0,0] neg_hi:[1,0,0]
	v_pk_mul_f32 v[20:21], v[28:29], s[2:3] op_sel_hi:[1,0]
	ds_write_b64 v16, v[12:13]
	v_pk_add_f32 v[12:13], v[8:9], v[18:19] op_sel:[0,1] op_sel_hi:[1,0]
	v_pk_add_f32 v[8:9], v[8:9], v[18:19] op_sel:[0,1] op_sel_hi:[1,0] neg_lo:[0,1] neg_hi:[0,1]
	v_pk_add_f32 v[18:19], v[14:15], v[20:21] op_sel:[0,1] op_sel_hi:[1,0]
	v_pk_add_f32 v[14:15], v[14:15], v[20:21] op_sel:[0,1] op_sel_hi:[1,0] neg_lo:[0,1] neg_hi:[0,1]
	v_mov_b32_e32 v20, v12
	v_mov_b32_e32 v21, v9
	;; [unrolled: 1-line block ×5, first 2 shown]
	v_pk_add_f32 v[10:11], v[10:11], v[24:25]
	v_mov_b32_e32 v12, v18
	ds_write_b64 v16, v[20:21] offset:3888
	ds_write_b64 v16, v[8:9] offset:7776
	ds_write_b64 v17, v[10:11]
	ds_write_b64 v17, v[12:13] offset:3888
	ds_write_b64 v17, v[14:15] offset:7776
	s_waitcnt lgkmcnt(0)
	s_barrier
	ds_read_b64 v[14:15], v16
	s_add_u32 s2, s4, 0x2d60
	s_addc_u32 s3, s5, 0
                                        ; implicit-def: $vgpr13
                                        ; implicit-def: $vgpr10_vgpr11
                                        ; implicit-def: $vgpr8_vgpr9
	s_and_saveexec_b64 s[4:5], vcc
	s_xor_b64 s[4:5], exec, s[4:5]
	s_cbranch_execz .LBB0_15
; %bb.14:
	v_mov_b32_e32 v1, v7
	v_lshl_add_u64 v[8:9], v[0:1], 3, s[2:3]
	global_load_dwordx2 v[8:9], v[8:9], off
	ds_read_b64 v[10:11], v6 offset:11664
	v_mov_b32_e32 v13, 0.5
	v_mov_b32_e32 v18, v13
	s_waitcnt lgkmcnt(0)
	v_pk_add_f32 v[20:21], v[10:11], v[14:15]
	v_pk_add_f32 v[10:11], v[14:15], v[10:11] neg_lo:[0,1] neg_hi:[0,1]
	v_mov_b32_e32 v14, v21
	v_mov_b32_e32 v15, v10
	v_pk_mul_f32 v[14:15], v[14:15], 0.5 op_sel_hi:[1,0]
	s_waitcnt vmcnt(0)
	v_mov_b32_e32 v12, v9
	v_mov_b32_e32 v10, v15
	;; [unrolled: 1-line block ×4, first 2 shown]
	v_pk_mul_f32 v[10:11], v[12:13], v[10:11]
	v_pk_mul_f32 v[22:23], v[8:9], v[14:15] op_sel_hi:[0,1]
	v_pk_fma_f32 v[24:25], v[20:21], v[18:19], v[10:11]
	v_pk_fma_f32 v[10:11], v[20:21], v[18:19], v[10:11] neg_lo:[0,0,1] neg_hi:[0,0,1]
	v_pk_fma_f32 v[12:13], v[8:9], v[14:15], v[24:25] op_sel_hi:[0,1,1] neg_lo:[1,0,0] neg_hi:[1,0,0]
	v_pk_fma_f32 v[10:11], v[8:9], v[14:15], v[10:11] op_sel_hi:[0,1,1] neg_lo:[1,0,0] neg_hi:[1,0,0]
	v_add_f32_e32 v12, v24, v22
	v_mov_b64_e32 v[8:9], v[0:1]
                                        ; implicit-def: $vgpr14_vgpr15
.LBB0_15:
	s_andn2_saveexec_b64 s[4:5], s[4:5]
	s_cbranch_execz .LBB0_17
; %bb.16:
	s_waitcnt lgkmcnt(0)
	v_mov_b32_e32 v8, v15
	v_pk_add_f32 v[10:11], v[14:15], v[8:9] neg_lo:[0,1] neg_hi:[0,1]
	v_add_f32_e32 v12, v15, v14
	v_mov_b32_e32 v11, 0
	ds_read_b32 v1, v11 offset:5836
	v_mov_b64_e32 v[8:9], 0
	v_mov_b32_e32 v13, v11
	s_waitcnt lgkmcnt(0)
	v_xor_b32_e32 v1, 0x80000000, v1
	ds_write_b32 v11, v1 offset:5836
.LBB0_17:
	s_or_b64 exec, exec, s[4:5]
	v_mov_b32_e32 v5, 0
	v_lshl_add_u64 v[4:5], v[4:5], 3, s[2:3]
	global_load_dwordx2 v[4:5], v[4:5], off
	s_waitcnt lgkmcnt(0)
	v_lshl_add_u64 v[14:15], v[8:9], 3, s[2:3]
	global_load_dwordx2 v[14:15], v[14:15], off offset:3888
	ds_write_b64 v16, v[12:13]
	ds_write_b64 v6, v[10:11] offset:11664
	ds_read_b64 v[10:11], v17
	ds_read_b64 v[12:13], v6 offset:9720
	v_mov_b32_e32 v19, 0.5
	v_mov_b32_e32 v20, v19
	s_waitcnt lgkmcnt(0)
	v_pk_add_f32 v[22:23], v[10:11], v[12:13]
	v_pk_add_f32 v[10:11], v[10:11], v[12:13] neg_lo:[0,1] neg_hi:[0,1]
	v_mov_b32_e32 v12, v23
	v_mov_b32_e32 v13, v10
	v_pk_mul_f32 v[12:13], v[12:13], 0.5 op_sel_hi:[1,0]
	s_waitcnt vmcnt(1)
	v_mov_b32_e32 v21, v5
	v_mov_b32_e32 v23, v12
	v_mov_b32_e32 v10, v13
	v_mov_b32_e32 v18, v5
	v_pk_mul_f32 v[20:21], v[22:23], v[20:21]
	s_nop 0
	v_pk_fma_f32 v[22:23], v[18:19], v[10:11], v[20:21] neg_lo:[1,0,0] neg_hi:[1,0,0]
	v_pk_fma_f32 v[10:11], v[18:19], v[10:11], v[20:21]
	v_pk_fma_f32 v[20:21], v[4:5], v[12:13], v[22:23] op_sel_hi:[0,1,1] neg_lo:[1,0,0] neg_hi:[1,0,0]
	v_pk_fma_f32 v[22:23], v[4:5], v[12:13], v[10:11] op_sel_hi:[0,1,1]
	v_pk_fma_f32 v[4:5], v[4:5], v[12:13], v[10:11] op_sel_hi:[0,1,1] neg_lo:[1,0,0] neg_hi:[1,0,0]
	v_mov_b32_e32 v23, v5
	ds_write_b64 v17, v[22:23]
	ds_write_b64 v6, v[20:21] offset:9720
	ds_read_b64 v[4:5], v16 offset:3888
	ds_read_b64 v[10:11], v6 offset:7776
	v_mov_b32_e32 v12, v19
	s_waitcnt vmcnt(0)
	v_mov_b32_e32 v13, v15
	v_mov_b32_e32 v18, v15
	s_waitcnt lgkmcnt(0)
	v_pk_add_f32 v[20:21], v[4:5], v[10:11]
	v_pk_add_f32 v[4:5], v[4:5], v[10:11] neg_lo:[0,1] neg_hi:[0,1]
	v_mov_b32_e32 v10, v21
	v_mov_b32_e32 v11, v4
	v_pk_mul_f32 v[10:11], v[10:11], 0.5 op_sel_hi:[1,0]
	s_nop 0
	v_mov_b32_e32 v21, v10
	v_mov_b32_e32 v4, v11
	v_pk_mul_f32 v[12:13], v[20:21], v[12:13]
	s_nop 0
	v_pk_fma_f32 v[20:21], v[18:19], v[4:5], v[12:13] neg_lo:[1,0,0] neg_hi:[1,0,0]
	v_pk_fma_f32 v[4:5], v[18:19], v[4:5], v[12:13]
	v_pk_fma_f32 v[12:13], v[14:15], v[10:11], v[20:21] op_sel_hi:[0,1,1] neg_lo:[1,0,0] neg_hi:[1,0,0]
	v_pk_fma_f32 v[18:19], v[14:15], v[10:11], v[4:5] op_sel_hi:[0,1,1]
	v_pk_fma_f32 v[4:5], v[14:15], v[10:11], v[4:5] op_sel_hi:[0,1,1] neg_lo:[1,0,0] neg_hi:[1,0,0]
	v_mov_b32_e32 v19, v5
	ds_write_b64 v16, v[18:19] offset:3888
	ds_write_b64 v6, v[12:13] offset:7776
	s_waitcnt lgkmcnt(0)
	s_barrier
	s_and_saveexec_b64 s[2:3], s[0:1]
	s_cbranch_execz .LBB0_20
; %bb.18:
	ds_read2_b64 v[4:7], v16 offset1:243
	v_add_u32_e32 v1, 0xf00, v16
	ds_read2_b64 v[10:13], v1 offset0:6 offset1:249
	v_lshl_add_u64 v[8:9], v[8:9], 3, v[2:3]
	v_add_u32_e32 v1, 0x1e00, v16
	s_waitcnt lgkmcnt(1)
	global_store_dwordx2 v[8:9], v[4:5], off
	global_store_dwordx2 v[8:9], v[6:7], off offset:1944
	s_waitcnt lgkmcnt(0)
	global_store_dwordx2 v[8:9], v[10:11], off offset:3888
	ds_read2_b64 v[4:7], v1 offset0:12 offset1:255
	v_add_co_u32_e32 v10, vcc, 0x1000, v8
	s_movk_i32 s0, 0xf2
	s_nop 0
	v_addc_co_u32_e32 v11, vcc, 0, v9, vcc
	global_store_dwordx2 v[10:11], v[12:13], off offset:1736
	s_waitcnt lgkmcnt(0)
	global_store_dwordx2 v[10:11], v[4:5], off offset:3680
	v_add_co_u32_e32 v4, vcc, 0x2000, v8
	s_nop 1
	v_addc_co_u32_e32 v5, vcc, 0, v9, vcc
	v_cmp_eq_u32_e32 vcc, s0, v0
	global_store_dwordx2 v[4:5], v[6:7], off offset:1528
	s_and_b64 exec, exec, vcc
	s_cbranch_execz .LBB0_20
; %bb.19:
	v_mov_b32_e32 v0, 0
	ds_read_b64 v[0:1], v0 offset:11664
	v_add_co_u32_e32 v2, vcc, 0x2000, v2
	s_nop 1
	v_addc_co_u32_e32 v3, vcc, 0, v3, vcc
	s_waitcnt lgkmcnt(0)
	global_store_dwordx2 v[2:3], v[0:1], off offset:3472
.LBB0_20:
	s_endpgm
	.section	.rodata,"a",@progbits
	.p2align	6, 0x0
	.amdhsa_kernel fft_rtc_fwd_len1458_factors_6_3_3_3_3_3_wgs_243_tpt_243_halfLds_sp_ip_CI_unitstride_sbrr_R2C_dirReg
		.amdhsa_group_segment_fixed_size 0
		.amdhsa_private_segment_fixed_size 0
		.amdhsa_kernarg_size 88
		.amdhsa_user_sgpr_count 2
		.amdhsa_user_sgpr_dispatch_ptr 0
		.amdhsa_user_sgpr_queue_ptr 0
		.amdhsa_user_sgpr_kernarg_segment_ptr 1
		.amdhsa_user_sgpr_dispatch_id 0
		.amdhsa_user_sgpr_kernarg_preload_length 0
		.amdhsa_user_sgpr_kernarg_preload_offset 0
		.amdhsa_user_sgpr_private_segment_size 0
		.amdhsa_uses_dynamic_stack 0
		.amdhsa_enable_private_segment 0
		.amdhsa_system_sgpr_workgroup_id_x 1
		.amdhsa_system_sgpr_workgroup_id_y 0
		.amdhsa_system_sgpr_workgroup_id_z 0
		.amdhsa_system_sgpr_workgroup_info 0
		.amdhsa_system_vgpr_workitem_id 0
		.amdhsa_next_free_vgpr 46
		.amdhsa_next_free_sgpr 22
		.amdhsa_accum_offset 48
		.amdhsa_reserve_vcc 1
		.amdhsa_float_round_mode_32 0
		.amdhsa_float_round_mode_16_64 0
		.amdhsa_float_denorm_mode_32 3
		.amdhsa_float_denorm_mode_16_64 3
		.amdhsa_dx10_clamp 1
		.amdhsa_ieee_mode 1
		.amdhsa_fp16_overflow 0
		.amdhsa_tg_split 0
		.amdhsa_exception_fp_ieee_invalid_op 0
		.amdhsa_exception_fp_denorm_src 0
		.amdhsa_exception_fp_ieee_div_zero 0
		.amdhsa_exception_fp_ieee_overflow 0
		.amdhsa_exception_fp_ieee_underflow 0
		.amdhsa_exception_fp_ieee_inexact 0
		.amdhsa_exception_int_div_zero 0
	.end_amdhsa_kernel
	.text
.Lfunc_end0:
	.size	fft_rtc_fwd_len1458_factors_6_3_3_3_3_3_wgs_243_tpt_243_halfLds_sp_ip_CI_unitstride_sbrr_R2C_dirReg, .Lfunc_end0-fft_rtc_fwd_len1458_factors_6_3_3_3_3_3_wgs_243_tpt_243_halfLds_sp_ip_CI_unitstride_sbrr_R2C_dirReg
                                        ; -- End function
	.section	.AMDGPU.csdata,"",@progbits
; Kernel info:
; codeLenInByte = 4932
; NumSgprs: 28
; NumVgprs: 46
; NumAgprs: 0
; TotalNumVgprs: 46
; ScratchSize: 0
; MemoryBound: 0
; FloatMode: 240
; IeeeMode: 1
; LDSByteSize: 0 bytes/workgroup (compile time only)
; SGPRBlocks: 3
; VGPRBlocks: 5
; NumSGPRsForWavesPerEU: 28
; NumVGPRsForWavesPerEU: 46
; AccumOffset: 48
; Occupancy: 8
; WaveLimiterHint : 1
; COMPUTE_PGM_RSRC2:SCRATCH_EN: 0
; COMPUTE_PGM_RSRC2:USER_SGPR: 2
; COMPUTE_PGM_RSRC2:TRAP_HANDLER: 0
; COMPUTE_PGM_RSRC2:TGID_X_EN: 1
; COMPUTE_PGM_RSRC2:TGID_Y_EN: 0
; COMPUTE_PGM_RSRC2:TGID_Z_EN: 0
; COMPUTE_PGM_RSRC2:TIDIG_COMP_CNT: 0
; COMPUTE_PGM_RSRC3_GFX90A:ACCUM_OFFSET: 11
; COMPUTE_PGM_RSRC3_GFX90A:TG_SPLIT: 0
	.text
	.p2alignl 6, 3212836864
	.fill 256, 4, 3212836864
	.type	__hip_cuid_f722426423bbe41a,@object ; @__hip_cuid_f722426423bbe41a
	.section	.bss,"aw",@nobits
	.globl	__hip_cuid_f722426423bbe41a
__hip_cuid_f722426423bbe41a:
	.byte	0                               ; 0x0
	.size	__hip_cuid_f722426423bbe41a, 1

	.ident	"AMD clang version 19.0.0git (https://github.com/RadeonOpenCompute/llvm-project roc-6.4.0 25133 c7fe45cf4b819c5991fe208aaa96edf142730f1d)"
	.section	".note.GNU-stack","",@progbits
	.addrsig
	.addrsig_sym __hip_cuid_f722426423bbe41a
	.amdgpu_metadata
---
amdhsa.kernels:
  - .agpr_count:     0
    .args:
      - .actual_access:  read_only
        .address_space:  global
        .offset:         0
        .size:           8
        .value_kind:     global_buffer
      - .offset:         8
        .size:           8
        .value_kind:     by_value
      - .actual_access:  read_only
        .address_space:  global
        .offset:         16
        .size:           8
        .value_kind:     global_buffer
      - .actual_access:  read_only
        .address_space:  global
        .offset:         24
        .size:           8
        .value_kind:     global_buffer
      - .offset:         32
        .size:           8
        .value_kind:     by_value
      - .actual_access:  read_only
        .address_space:  global
        .offset:         40
        .size:           8
        .value_kind:     global_buffer
      - .actual_access:  read_only
        .address_space:  global
        .offset:         48
        .size:           8
        .value_kind:     global_buffer
      - .offset:         56
        .size:           4
        .value_kind:     by_value
      - .actual_access:  read_only
        .address_space:  global
        .offset:         64
        .size:           8
        .value_kind:     global_buffer
      - .actual_access:  read_only
        .address_space:  global
        .offset:         72
        .size:           8
        .value_kind:     global_buffer
      - .address_space:  global
        .offset:         80
        .size:           8
        .value_kind:     global_buffer
    .group_segment_fixed_size: 0
    .kernarg_segment_align: 8
    .kernarg_segment_size: 88
    .language:       OpenCL C
    .language_version:
      - 2
      - 0
    .max_flat_workgroup_size: 243
    .name:           fft_rtc_fwd_len1458_factors_6_3_3_3_3_3_wgs_243_tpt_243_halfLds_sp_ip_CI_unitstride_sbrr_R2C_dirReg
    .private_segment_fixed_size: 0
    .sgpr_count:     28
    .sgpr_spill_count: 0
    .symbol:         fft_rtc_fwd_len1458_factors_6_3_3_3_3_3_wgs_243_tpt_243_halfLds_sp_ip_CI_unitstride_sbrr_R2C_dirReg.kd
    .uniform_work_group_size: 1
    .uses_dynamic_stack: false
    .vgpr_count:     46
    .vgpr_spill_count: 0
    .wavefront_size: 64
amdhsa.target:   amdgcn-amd-amdhsa--gfx950
amdhsa.version:
  - 1
  - 2
...

	.end_amdgpu_metadata
